;; amdgpu-corpus repo=ROCm/rocFFT kind=compiled arch=gfx950 opt=O3
	.text
	.amdgcn_target "amdgcn-amd-amdhsa--gfx950"
	.amdhsa_code_object_version 6
	.protected	fft_rtc_fwd_len512_factors_8_8_8_wgs_256_tpt_64_dp_ip_CI_sbcc_twdbase8_2step_dirReg_intrinsicRead ; -- Begin function fft_rtc_fwd_len512_factors_8_8_8_wgs_256_tpt_64_dp_ip_CI_sbcc_twdbase8_2step_dirReg_intrinsicRead
	.globl	fft_rtc_fwd_len512_factors_8_8_8_wgs_256_tpt_64_dp_ip_CI_sbcc_twdbase8_2step_dirReg_intrinsicRead
	.p2align	8
	.type	fft_rtc_fwd_len512_factors_8_8_8_wgs_256_tpt_64_dp_ip_CI_sbcc_twdbase8_2step_dirReg_intrinsicRead,@function
fft_rtc_fwd_len512_factors_8_8_8_wgs_256_tpt_64_dp_ip_CI_sbcc_twdbase8_2step_dirReg_intrinsicRead: ; @fft_rtc_fwd_len512_factors_8_8_8_wgs_256_tpt_64_dp_ip_CI_sbcc_twdbase8_2step_dirReg_intrinsicRead
; %bb.0:
	s_load_dwordx4 s[12:15], s[0:1], 0x18
	s_mov_b32 s3, 0
	s_mov_b64 s[26:27], 0
	s_waitcnt lgkmcnt(0)
	s_load_dwordx2 s[20:21], s[12:13], 0x8
	s_waitcnt lgkmcnt(0)
	s_add_u32 s4, s20, -1
	s_addc_u32 s5, s21, -1
	s_lshr_b64 s[4:5], s[4:5], 2
	s_add_u32 s22, s4, 1
	s_addc_u32 s23, s5, 0
	v_mov_b64_e32 v[2:3], s[22:23]
	v_cmp_lt_u64_e32 vcc, s[2:3], v[2:3]
	s_cbranch_vccnz .LBB0_2
; %bb.1:
	v_cvt_f32_u32_e32 v1, s22
	s_sub_i32 s4, 0, s22
	s_mov_b32 s27, s3
	v_rcp_iflag_f32_e32 v1, v1
	s_nop 0
	v_mul_f32_e32 v1, 0x4f7ffffe, v1
	v_cvt_u32_f32_e32 v1, v1
	s_nop 0
	v_readfirstlane_b32 s5, v1
	s_mul_i32 s4, s4, s5
	s_mul_hi_u32 s4, s5, s4
	s_add_i32 s5, s5, s4
	s_mul_hi_u32 s4, s2, s5
	s_mul_i32 s6, s4, s22
	s_sub_i32 s6, s2, s6
	s_add_i32 s5, s4, 1
	s_sub_i32 s7, s6, s22
	s_cmp_ge_u32 s6, s22
	s_cselect_b32 s4, s5, s4
	s_cselect_b32 s6, s7, s6
	s_add_i32 s5, s4, 1
	s_cmp_ge_u32 s6, s22
	s_cselect_b32 s26, s5, s4
.LBB0_2:
	s_load_dwordx2 s[16:17], s[0:1], 0x58
	s_load_dwordx4 s[4:7], s[14:15], 0x0
	s_load_dwordx2 s[18:19], s[0:1], 0x0
	s_load_dwordx4 s[8:11], s[0:1], 0x8
	s_mul_i32 s0, s26, s23
	s_mul_hi_u32 s1, s26, s22
	s_add_i32 s1, s1, s0
	s_mul_i32 s0, s26, s22
	s_sub_u32 s0, s2, s0
	s_subb_u32 s1, 0, s1
	v_mov_b32_e32 v1, s0
	s_lshl_b64 s[24:25], s[0:1], 2
	v_alignbit_b32 v1, s1, v1, 30
	s_waitcnt lgkmcnt(0)
	v_mul_lo_u32 v1, s6, v1
	s_mul_hi_u32 s0, s6, s24
	v_add_u32_e32 v1, s0, v1
	s_mul_i32 s0, s7, s24
	v_add_u32_e32 v3, s0, v1
	s_mul_i32 s0, s6, s24
	v_mov_b32_e32 v2, s0
	v_cmp_lt_u64_e64 s[0:1], s[10:11], 3
	s_and_b64 vcc, exec, s[0:1]
	s_cbranch_vccnz .LBB0_11
; %bb.3:
	s_add_u32 s28, s14, 16
	s_addc_u32 s29, s15, 0
	s_add_u32 s12, s12, 16
	s_addc_u32 s13, s13, 0
	s_mov_b64 s[30:31], 2
	s_mov_b32 s34, 0
	v_mov_b64_e32 v[4:5], s[10:11]
	s_branch .LBB0_5
.LBB0_4:                                ;   in Loop: Header=BB0_5 Depth=1
	s_mul_i32 s23, s36, s23
	s_mul_hi_u32 s33, s36, s22
	s_add_i32 s23, s33, s23
	s_mul_i32 s33, s37, s22
	s_add_i32 s23, s23, s33
	s_mul_i32 s33, s0, s37
	s_mul_hi_u32 s35, s0, s36
	s_load_dwordx2 s[38:39], s[28:29], 0x0
	s_add_i32 s33, s35, s33
	s_mul_i32 s35, s1, s36
	s_add_i32 s33, s33, s35
	s_mul_i32 s35, s0, s36
	s_sub_u32 s26, s26, s35
	s_subb_u32 s27, s27, s33
	s_waitcnt lgkmcnt(0)
	s_mul_i32 s27, s38, s27
	s_mul_hi_u32 s33, s38, s26
	s_add_i32 s27, s33, s27
	s_mul_i32 s33, s39, s26
	s_add_i32 s27, s27, s33
	s_add_u32 s30, s30, 1
	s_addc_u32 s31, s31, 0
	s_add_u32 s28, s28, 8
	s_addc_u32 s29, s29, 0
	s_mul_i32 s26, s38, s26
	s_add_u32 s12, s12, 8
	v_cmp_ge_u64_e32 vcc, s[30:31], v[4:5]
	s_mul_i32 s22, s36, s22
	v_lshl_add_u64 v[2:3], s[26:27], 0, v[2:3]
	s_addc_u32 s13, s13, 0
	s_mov_b64 s[26:27], s[0:1]
	s_cbranch_vccnz .LBB0_9
.LBB0_5:                                ; =>This Inner Loop Header: Depth=1
	s_load_dwordx2 s[36:37], s[12:13], 0x0
	s_waitcnt lgkmcnt(0)
	s_or_b64 s[0:1], s[26:27], s[36:37]
	s_mov_b32 s35, s1
	s_cmp_lg_u64 s[34:35], 0
	s_cbranch_scc0 .LBB0_7
; %bb.6:                                ;   in Loop: Header=BB0_5 Depth=1
	v_cvt_f32_u32_e32 v1, s36
	v_cvt_f32_u32_e32 v6, s37
	s_sub_u32 s0, 0, s36
	s_subb_u32 s1, 0, s37
	v_fmac_f32_e32 v1, 0x4f800000, v6
	v_rcp_f32_e32 v1, v1
	s_nop 0
	v_mul_f32_e32 v1, 0x5f7ffffc, v1
	v_mul_f32_e32 v6, 0x2f800000, v1
	v_trunc_f32_e32 v6, v6
	v_fmac_f32_e32 v1, 0xcf800000, v6
	v_cvt_u32_f32_e32 v6, v6
	v_cvt_u32_f32_e32 v1, v1
	v_readfirstlane_b32 s33, v6
	v_readfirstlane_b32 s35, v1
	s_mul_i32 s38, s0, s33
	s_mul_hi_u32 s40, s0, s35
	s_mul_i32 s39, s1, s35
	s_add_i32 s38, s40, s38
	s_mul_i32 s41, s0, s35
	s_add_i32 s38, s38, s39
	s_mul_hi_u32 s39, s35, s38
	s_mul_i32 s40, s35, s38
	s_mul_hi_u32 s35, s35, s41
	s_add_u32 s35, s35, s40
	s_addc_u32 s39, 0, s39
	s_mul_hi_u32 s42, s33, s41
	s_mul_i32 s41, s33, s41
	s_add_u32 s35, s35, s41
	s_mul_hi_u32 s40, s33, s38
	s_addc_u32 s35, s39, s42
	s_addc_u32 s39, s40, 0
	s_mul_i32 s38, s33, s38
	s_add_u32 s35, s35, s38
	s_addc_u32 s38, 0, s39
	v_add_co_u32_e32 v1, vcc, s35, v1
	s_cmp_lg_u64 vcc, 0
	s_addc_u32 s33, s33, s38
	v_readfirstlane_b32 s38, v1
	s_mul_i32 s35, s0, s33
	s_mul_hi_u32 s39, s0, s38
	s_add_i32 s35, s39, s35
	s_mul_i32 s1, s1, s38
	s_add_i32 s35, s35, s1
	s_mul_i32 s0, s0, s38
	s_mul_hi_u32 s39, s33, s0
	s_mul_i32 s40, s33, s0
	s_mul_i32 s42, s38, s35
	s_mul_hi_u32 s0, s38, s0
	s_mul_hi_u32 s41, s38, s35
	s_add_u32 s0, s0, s42
	s_addc_u32 s38, 0, s41
	s_add_u32 s0, s0, s40
	s_mul_hi_u32 s1, s33, s35
	s_addc_u32 s0, s38, s39
	s_addc_u32 s1, s1, 0
	s_mul_i32 s35, s33, s35
	s_add_u32 s0, s0, s35
	s_addc_u32 s1, 0, s1
	v_add_co_u32_e32 v1, vcc, s0, v1
	s_cmp_lg_u64 vcc, 0
	s_addc_u32 s0, s33, s1
	v_readfirstlane_b32 s35, v1
	s_mul_i32 s33, s26, s0
	s_mul_hi_u32 s38, s26, s35
	s_mul_hi_u32 s1, s26, s0
	s_add_u32 s33, s38, s33
	s_addc_u32 s1, 0, s1
	s_mul_hi_u32 s39, s27, s35
	s_mul_i32 s35, s27, s35
	s_add_u32 s33, s33, s35
	s_mul_hi_u32 s38, s27, s0
	s_addc_u32 s1, s1, s39
	s_addc_u32 s33, s38, 0
	s_mul_i32 s0, s27, s0
	s_add_u32 s35, s1, s0
	s_addc_u32 s33, 0, s33
	s_mul_i32 s0, s36, s33
	s_mul_hi_u32 s1, s36, s35
	s_add_i32 s0, s1, s0
	s_mul_i32 s1, s37, s35
	s_add_i32 s38, s0, s1
	s_mul_i32 s1, s36, s35
	v_mov_b32_e32 v1, s1
	s_sub_i32 s0, s27, s38
	v_sub_co_u32_e32 v1, vcc, s26, v1
	s_cmp_lg_u64 vcc, 0
	s_subb_u32 s39, s0, s37
	v_subrev_co_u32_e64 v6, s[0:1], s36, v1
	s_cmp_lg_u64 s[0:1], 0
	s_subb_u32 s0, s39, 0
	s_cmp_ge_u32 s0, s37
	v_readfirstlane_b32 s39, v6
	s_cselect_b32 s1, -1, 0
	s_cmp_ge_u32 s39, s36
	s_cselect_b32 s39, -1, 0
	s_cmp_eq_u32 s0, s37
	s_cselect_b32 s0, s39, s1
	s_add_u32 s1, s35, 1
	s_addc_u32 s39, s33, 0
	s_add_u32 s40, s35, 2
	s_addc_u32 s41, s33, 0
	s_cmp_lg_u32 s0, 0
	s_cselect_b32 s0, s40, s1
	s_cselect_b32 s1, s41, s39
	s_cmp_lg_u64 vcc, 0
	s_subb_u32 s38, s27, s38
	s_cmp_ge_u32 s38, s37
	v_readfirstlane_b32 s40, v1
	s_cselect_b32 s39, -1, 0
	s_cmp_ge_u32 s40, s36
	s_cselect_b32 s40, -1, 0
	s_cmp_eq_u32 s38, s37
	s_cselect_b32 s38, s40, s39
	s_cmp_lg_u32 s38, 0
	s_cselect_b32 s1, s1, s33
	s_cselect_b32 s0, s0, s35
	s_cbranch_execnz .LBB0_4
	s_branch .LBB0_8
.LBB0_7:                                ;   in Loop: Header=BB0_5 Depth=1
                                        ; implicit-def: $sgpr0_sgpr1
.LBB0_8:                                ;   in Loop: Header=BB0_5 Depth=1
	v_cvt_f32_u32_e32 v1, s36
	s_sub_i32 s0, 0, s36
	v_rcp_iflag_f32_e32 v1, v1
	s_nop 0
	v_mul_f32_e32 v1, 0x4f7ffffe, v1
	v_cvt_u32_f32_e32 v1, v1
	s_nop 0
	v_readfirstlane_b32 s1, v1
	s_mul_i32 s0, s0, s1
	s_mul_hi_u32 s0, s1, s0
	s_add_i32 s1, s1, s0
	s_mul_hi_u32 s0, s26, s1
	s_mul_i32 s33, s0, s36
	s_sub_i32 s33, s26, s33
	s_add_i32 s1, s0, 1
	s_sub_i32 s35, s33, s36
	s_cmp_ge_u32 s33, s36
	s_cselect_b32 s0, s1, s0
	s_cselect_b32 s33, s35, s33
	s_add_i32 s1, s0, 1
	s_cmp_ge_u32 s33, s36
	s_cselect_b32 s0, s1, s0
	s_mov_b32 s1, s34
	s_branch .LBB0_4
.LBB0_9:
	v_mov_b64_e32 v[4:5], s[22:23]
	v_cmp_lt_u64_e32 vcc, s[2:3], v[4:5]
	s_mov_b64 s[26:27], 0
	s_cbranch_vccnz .LBB0_11
; %bb.10:
	v_cvt_f32_u32_e32 v1, s22
	s_sub_i32 s0, 0, s22
	v_rcp_iflag_f32_e32 v1, v1
	s_nop 0
	v_mul_f32_e32 v1, 0x4f7ffffe, v1
	v_cvt_u32_f32_e32 v1, v1
	s_nop 0
	v_readfirstlane_b32 s1, v1
	s_mul_i32 s0, s0, s1
	s_mul_hi_u32 s0, s1, s0
	s_add_i32 s1, s1, s0
	s_mul_hi_u32 s0, s2, s1
	s_mul_i32 s3, s0, s22
	s_sub_i32 s2, s2, s3
	s_add_i32 s1, s0, 1
	s_sub_i32 s3, s2, s22
	s_cmp_ge_u32 s2, s22
	s_cselect_b32 s0, s1, s0
	s_cselect_b32 s2, s3, s2
	s_add_i32 s1, s0, 1
	s_cmp_ge_u32 s2, s22
	s_cselect_b32 s26, s1, s0
.LBB0_11:
	s_lshl_b64 s[0:1], s[10:11], 3
	s_add_u32 s0, s14, s0
	s_addc_u32 s1, s15, s1
	s_load_dwordx2 s[0:1], s[0:1], 0x0
	v_and_b32_e32 v40, 3, v0
	v_or_b32_e32 v38, s24, v40
	v_mov_b32_e32 v39, s25
	v_mov_b64_e32 v[4:5], 0
	s_waitcnt lgkmcnt(0)
	s_mul_i32 s1, s1, s26
	s_mul_hi_u32 s2, s0, s26
	s_mul_i32 s0, s0, s26
	s_add_i32 s1, s2, s1
	v_lshl_add_u64 v[34:35], s[0:1], 0, v[2:3]
	s_add_u32 s0, s24, 4
	s_addc_u32 s1, s25, 0
	v_mov_b64_e32 v[2:3], s[20:21]
	v_cmp_le_u64_e32 vcc, s[0:1], v[2:3]
	v_mad_u64_u32 v[36:37], s[0:1], s6, v40, 0
	v_mov_b32_e32 v2, v37
	v_mad_u64_u32 v[2:3], s[0:1], s7, v40, v[2:3]
	v_cmp_gt_u64_e64 s[0:1], s[20:21], v[38:39]
	v_lshrrev_b32_e32 v1, 2, v0
	v_mov_b32_e32 v37, v2
	s_or_b64 s[6:7], vcc, s[0:1]
	v_mov_b64_e32 v[8:9], v[4:5]
	v_mov_b64_e32 v[6:7], v[4:5]
	s_and_saveexec_b64 s[0:1], s[6:7]
	s_cbranch_execz .LBB0_13
; %bb.12:
	v_mul_lo_u32 v2, s4, v1
	v_add3_u32 v2, v34, v36, v2
	v_mov_b32_e32 v3, 0
	v_lshl_add_u64 v[2:3], v[2:3], 4, s[16:17]
	global_load_dwordx4 v[6:9], v[2:3], off
.LBB0_13:
	s_or_b64 exec, exec, s[0:1]
	v_mov_b64_e32 v[2:3], v[4:5]
	s_and_saveexec_b64 s[0:1], s[6:7]
	s_cbranch_execz .LBB0_15
; %bb.14:
	v_add_u32_e32 v2, 64, v1
	v_mul_lo_u32 v2, s4, v2
	v_add3_u32 v2, v34, v36, v2
	v_mov_b32_e32 v3, 0
	v_lshl_add_u64 v[2:3], v[2:3], 4, s[16:17]
	global_load_dwordx4 v[2:5], v[2:3], off
.LBB0_15:
	s_or_b64 exec, exec, s[0:1]
	v_mov_b64_e32 v[12:13], 0
	v_mov_b64_e32 v[16:17], v[12:13]
	;; [unrolled: 1-line block ×3, first 2 shown]
	s_and_saveexec_b64 s[0:1], s[6:7]
	s_cbranch_execz .LBB0_17
; %bb.16:
	v_add_u32_e32 v10, 0x80, v1
	v_mul_lo_u32 v10, s4, v10
	v_add3_u32 v10, v34, v36, v10
	v_mov_b32_e32 v11, 0
	v_lshl_add_u64 v[10:11], v[10:11], 4, s[16:17]
	global_load_dwordx4 v[14:17], v[10:11], off
.LBB0_17:
	s_or_b64 exec, exec, s[0:1]
	v_mov_b64_e32 v[10:11], v[12:13]
	s_and_saveexec_b64 s[0:1], s[6:7]
	s_cbranch_execz .LBB0_19
; %bb.18:
	v_add_u32_e32 v10, 0xc0, v1
	v_mul_lo_u32 v10, s4, v10
	v_add3_u32 v10, v34, v36, v10
	v_mov_b32_e32 v11, 0
	v_lshl_add_u64 v[10:11], v[10:11], 4, s[16:17]
	global_load_dwordx4 v[10:13], v[10:11], off
.LBB0_19:
	s_or_b64 exec, exec, s[0:1]
	v_mov_b64_e32 v[20:21], 0
	v_mov_b64_e32 v[24:25], v[20:21]
	;; [unrolled: 1-line block ×3, first 2 shown]
	s_and_saveexec_b64 s[0:1], s[6:7]
	s_cbranch_execz .LBB0_21
; %bb.20:
	v_or_b32_e32 v18, 0x100, v1
	v_mul_lo_u32 v18, s4, v18
	v_add3_u32 v18, v34, v36, v18
	v_mov_b32_e32 v19, 0
	v_lshl_add_u64 v[18:19], v[18:19], 4, s[16:17]
	global_load_dwordx4 v[22:25], v[18:19], off
.LBB0_21:
	s_or_b64 exec, exec, s[0:1]
	v_mov_b64_e32 v[18:19], v[20:21]
	s_and_saveexec_b64 s[0:1], s[6:7]
	s_cbranch_execz .LBB0_23
; %bb.22:
	v_add_u32_e32 v18, 0x140, v1
	v_mul_lo_u32 v18, s4, v18
	v_add3_u32 v18, v34, v36, v18
	v_mov_b32_e32 v19, 0
	v_lshl_add_u64 v[18:19], v[18:19], 4, s[16:17]
	global_load_dwordx4 v[18:21], v[18:19], off
.LBB0_23:
	s_or_b64 exec, exec, s[0:1]
	v_mov_b64_e32 v[28:29], 0
	v_mov_b64_e32 v[32:33], v[28:29]
	;; [unrolled: 1-line block ×3, first 2 shown]
	s_and_saveexec_b64 s[0:1], s[6:7]
	s_cbranch_execz .LBB0_25
; %bb.24:
	v_add_u32_e32 v26, 0x180, v1
	v_mul_lo_u32 v26, s4, v26
	v_add3_u32 v26, v34, v36, v26
	v_mov_b32_e32 v27, 0
	v_lshl_add_u64 v[26:27], v[26:27], 4, s[16:17]
	global_load_dwordx4 v[30:33], v[26:27], off
.LBB0_25:
	s_or_b64 exec, exec, s[0:1]
	v_mov_b64_e32 v[26:27], v[28:29]
	s_and_saveexec_b64 s[0:1], s[6:7]
	s_cbranch_execz .LBB0_27
; %bb.26:
	v_add_u32_e32 v26, 0x1c0, v1
	v_mul_lo_u32 v26, s4, v26
	v_add3_u32 v26, v34, v36, v26
	v_mov_b32_e32 v27, 0
	v_lshl_add_u64 v[26:27], v[26:27], 4, s[16:17]
	global_load_dwordx4 v[26:29], v[26:27], off
.LBB0_27:
	s_or_b64 exec, exec, s[0:1]
	s_waitcnt vmcnt(0)
	v_add_f64 v[22:23], v[6:7], -v[22:23]
	v_add_f64 v[24:25], v[8:9], -v[24:25]
	v_add_f64 v[30:31], v[14:15], -v[30:31]
	v_add_f64 v[32:33], v[16:17], -v[32:33]
	v_add_f64 v[18:19], v[2:3], -v[18:19]
	v_add_f64 v[20:21], v[4:5], -v[20:21]
	v_add_f64 v[26:27], v[10:11], -v[26:27]
	v_add_f64 v[28:29], v[12:13], -v[28:29]
	v_fma_f64 v[6:7], v[6:7], 2.0, -v[22:23]
	v_fma_f64 v[8:9], v[8:9], 2.0, -v[24:25]
	;; [unrolled: 1-line block ×8, first 2 shown]
	v_add_f64 v[32:33], v[22:23], -v[32:33]
	v_add_f64 v[46:47], v[24:25], v[30:31]
	v_add_f64 v[42:43], v[6:7], -v[14:15]
	v_add_f64 v[44:45], v[8:9], -v[16:17]
	v_fma_f64 v[14:15], v[22:23], 2.0, -v[32:33]
	v_fma_f64 v[16:17], v[24:25], 2.0, -v[46:47]
	v_add_f64 v[22:23], v[2:3], -v[10:11]
	v_add_f64 v[24:25], v[4:5], -v[12:13]
	;; [unrolled: 1-line block ×3, first 2 shown]
	v_add_f64 v[48:49], v[20:21], v[26:27]
	s_mov_b32 s0, 0x667f3bcd
	v_fma_f64 v[6:7], v[6:7], 2.0, -v[42:43]
	v_fma_f64 v[8:9], v[8:9], 2.0, -v[44:45]
	;; [unrolled: 1-line block ×6, first 2 shown]
	s_mov_b32 s1, 0xbfe6a09e
	s_mov_b32 s3, 0x3fe6a09e
	;; [unrolled: 1-line block ×3, first 2 shown]
	v_add_f64 v[2:3], v[6:7], -v[2:3]
	v_add_f64 v[4:5], v[8:9], -v[4:5]
	v_fma_f64 v[10:11], s[0:1], v[18:19], v[14:15]
	v_fma_f64 v[12:13], s[0:1], v[20:21], v[16:17]
	;; [unrolled: 1-line block ×4, first 2 shown]
	v_lshlrev_b32_e32 v39, 9, v1
	v_lshlrev_b32_e32 v60, 4, v40
	v_fma_f64 v[6:7], v[6:7], 2.0, -v[2:3]
	v_fma_f64 v[8:9], v[8:9], 2.0, -v[4:5]
	v_fmac_f64_e32 v[10:11], s[0:1], v[20:21]
	v_fmac_f64_e32 v[12:13], s[2:3], v[18:19]
	v_add_f64 v[18:19], v[42:43], -v[24:25]
	v_add_f64 v[20:21], v[44:45], v[22:23]
	v_fmac_f64_e32 v[26:27], s[0:1], v[48:49]
	v_fmac_f64_e32 v[28:29], s[2:3], v[30:31]
	v_add3_u32 v39, 0, v39, v60
	v_fma_f64 v[14:15], v[14:15], 2.0, -v[10:11]
	v_fma_f64 v[16:17], v[16:17], 2.0, -v[12:13]
	;; [unrolled: 1-line block ×6, first 2 shown]
	ds_write_b128 v39, v[6:9]
	ds_write_b128 v39, v[14:17] offset:64
	ds_write_b128 v39, v[22:25] offset:128
	;; [unrolled: 1-line block ×7, first 2 shown]
	v_bfe_u32 v18, v0, 2, 3
	v_mul_u32_u24_e32 v2, 7, v18
	v_lshlrev_b32_e32 v19, 4, v2
	s_waitcnt lgkmcnt(0)
	s_barrier
	global_load_dwordx4 v[2:5], v19, s[18:19]
	global_load_dwordx4 v[6:9], v19, s[18:19] offset:16
	global_load_dwordx4 v[10:13], v19, s[18:19] offset:32
	;; [unrolled: 1-line block ×6, first 2 shown]
	s_movk_i32 s10, 0xfe40
	v_mad_i32_i24 v19, v1, s10, v39
	ds_read_b128 v[40:43], v19 offset:4096
	ds_read_b128 v[44:47], v19
	ds_read_b128 v[48:51], v19 offset:8192
	ds_read_b128 v[52:55], v19 offset:12288
	s_movk_i32 s10, 0x7c0
	s_waitcnt vmcnt(6) lgkmcnt(3)
	v_mul_f64 v[32:33], v[42:43], v[4:5]
	s_waitcnt vmcnt(5) lgkmcnt(1)
	v_mul_f64 v[58:59], v[50:51], v[8:9]
	v_fma_f64 v[58:59], v[48:49], v[6:7], -v[58:59]
	v_mul_f64 v[48:49], v[48:49], v[8:9]
	v_mul_f64 v[56:57], v[40:41], v[4:5]
	v_fmac_f64_e32 v[48:49], v[50:51], v[6:7]
	s_waitcnt vmcnt(4) lgkmcnt(0)
	v_mul_f64 v[6:7], v[54:55], v[12:13]
	v_fma_f64 v[32:33], v[40:41], v[2:3], -v[32:33]
	v_fmac_f64_e32 v[56:57], v[42:43], v[2:3]
	ds_read_b128 v[2:5], v19 offset:16384
	ds_read_b128 v[40:43], v19 offset:20480
	v_fma_f64 v[50:51], v[52:53], v[10:11], -v[6:7]
	v_mul_f64 v[52:53], v[52:53], v[12:13]
	v_fmac_f64_e32 v[52:53], v[54:55], v[10:11]
	ds_read_b128 v[6:9], v19 offset:24576
	ds_read_b128 v[10:13], v19 offset:28672
	s_waitcnt vmcnt(3) lgkmcnt(3)
	v_mul_f64 v[54:55], v[4:5], v[16:17]
	v_fma_f64 v[54:55], v[2:3], v[14:15], -v[54:55]
	v_mul_f64 v[2:3], v[2:3], v[16:17]
	s_waitcnt vmcnt(1) lgkmcnt(1)
	v_mul_f64 v[16:17], v[8:9], v[26:27]
	v_fma_f64 v[16:17], v[6:7], v[24:25], -v[16:17]
	v_mul_f64 v[6:7], v[6:7], v[26:27]
	v_fmac_f64_e32 v[6:7], v[8:9], v[24:25]
	s_waitcnt vmcnt(0) lgkmcnt(0)
	v_mul_f64 v[8:9], v[12:13], v[30:31]
	v_fmac_f64_e32 v[2:3], v[4:5], v[14:15]
	v_mul_f64 v[14:15], v[40:41], v[22:23]
	v_fma_f64 v[8:9], v[10:11], v[28:29], -v[8:9]
	v_mul_f64 v[10:11], v[10:11], v[30:31]
	v_mul_f64 v[4:5], v[42:43], v[22:23]
	v_fmac_f64_e32 v[14:15], v[42:43], v[20:21]
	v_fmac_f64_e32 v[10:11], v[12:13], v[28:29]
	v_fma_f64 v[4:5], v[40:41], v[20:21], -v[4:5]
	v_add_f64 v[2:3], v[46:47], -v[2:3]
	v_add_f64 v[6:7], v[48:49], -v[6:7]
	;; [unrolled: 1-line block ×4, first 2 shown]
	v_fma_f64 v[22:23], v[46:47], 2.0, -v[2:3]
	v_fma_f64 v[26:27], v[48:49], 2.0, -v[6:7]
	v_add_f64 v[4:5], v[32:33], -v[4:5]
	v_fma_f64 v[30:31], v[56:57], 2.0, -v[14:15]
	v_add_f64 v[8:9], v[50:51], -v[8:9]
	;; [unrolled: 2-line block ×3, first 2 shown]
	v_add_f64 v[16:17], v[58:59], -v[16:17]
	v_fma_f64 v[28:29], v[32:33], 2.0, -v[4:5]
	v_fma_f64 v[32:33], v[50:51], 2.0, -v[8:9]
	v_add_f64 v[26:27], v[22:23], -v[26:27]
	v_add_f64 v[40:41], v[30:31], -v[40:41]
	v_fma_f64 v[20:21], v[44:45], 2.0, -v[12:13]
	v_fma_f64 v[22:23], v[22:23], 2.0, -v[26:27]
	v_add_f64 v[42:43], v[12:13], -v[6:7]
	v_add_f64 v[44:45], v[2:3], v[16:17]
	v_add_f64 v[32:33], v[28:29], -v[32:33]
	v_fma_f64 v[6:7], v[30:31], 2.0, -v[40:41]
	v_add_f64 v[48:49], v[4:5], -v[10:11]
	v_fma_f64 v[24:25], v[58:59], 2.0, -v[16:17]
	v_fma_f64 v[46:47], v[2:3], 2.0, -v[44:45]
	;; [unrolled: 1-line block ×3, first 2 shown]
	v_add_f64 v[50:51], v[14:15], v[8:9]
	v_fma_f64 v[28:29], v[4:5], 2.0, -v[48:49]
	v_add_f64 v[4:5], v[22:23], -v[6:7]
	v_add_f64 v[24:25], v[20:21], -v[24:25]
	v_fma_f64 v[14:15], v[14:15], 2.0, -v[50:51]
	v_fma_f64 v[8:9], v[22:23], 2.0, -v[4:5]
	v_add_f64 v[22:23], v[26:27], v[32:33]
	v_lshlrev_b32_e32 v32, 3, v1
	v_fma_f64 v[20:21], v[20:21], 2.0, -v[24:25]
	v_fma_f64 v[16:17], v[12:13], 2.0, -v[42:43]
	v_fma_f64 v[12:13], s[0:1], v[14:15], v[46:47]
	v_and_or_b32 v18, v32, s10, v18
	v_add_f64 v[2:3], v[20:21], -v[2:3]
	v_fma_f64 v[10:11], s[0:1], v[28:29], v[16:17]
	v_fmac_f64_e32 v[12:13], s[2:3], v[28:29]
	v_fma_f64 v[28:29], s[2:3], v[48:49], v[42:43]
	v_fma_f64 v[30:31], s[2:3], v[50:51], v[44:45]
	v_lshlrev_b32_e32 v18, 6, v18
	v_fma_f64 v[6:7], v[20:21], 2.0, -v[2:3]
	v_fmac_f64_e32 v[10:11], s[0:1], v[14:15]
	v_add_f64 v[20:21], v[24:25], -v[40:41]
	v_fmac_f64_e32 v[28:29], s[0:1], v[50:51]
	v_fmac_f64_e32 v[30:31], s[2:3], v[48:49]
	v_add3_u32 v18, 0, v18, v60
	v_fma_f64 v[14:15], v[16:17], 2.0, -v[10:11]
	v_fma_f64 v[16:17], v[46:47], 2.0, -v[12:13]
	;; [unrolled: 1-line block ×6, first 2 shown]
	s_barrier
	ds_write_b128 v18, v[6:9]
	ds_write_b128 v18, v[14:17] offset:512
	ds_write_b128 v18, v[24:27] offset:1024
	;; [unrolled: 1-line block ×7, first 2 shown]
	s_waitcnt lgkmcnt(0)
	s_barrier
	s_and_saveexec_b64 s[10:11], s[6:7]
	s_cbranch_execz .LBB0_29
; %bb.28:
	v_bfe_u32 v18, v0, 2, 6
	v_mul_u32_u24_e32 v2, 7, v18
	v_lshlrev_b32_e32 v30, 4, v2
	global_load_dwordx4 v[2:5], v30, s[18:19] offset:896
	global_load_dwordx4 v[10:13], v30, s[18:19] offset:960
	;; [unrolled: 1-line block ×3, first 2 shown]
	v_or_b32_e32 v14, 0x1c0, v1
	v_or_b32_e32 v1, 0xc0, v1
	v_mul_lo_u32 v31, v38, v14
	global_load_dwordx4 v[14:17], v30, s[18:19] offset:992
	v_mov_b32_e32 v21, 4
	v_mul_lo_u32 v1, v38, v1
	global_load_dwordx4 v[22:25], v30, s[18:19] offset:944
	global_load_dwordx4 v[26:29], v30, s[18:19] offset:912
	v_mov_b32_e32 v20, 0x1000
	v_or_b32_e32 v39, 0x180, v18
	v_or_b32_e32 v40, 0x80, v18
	v_lshlrev_b32_sdwa v56, v21, v31 dst_sel:DWORD dst_unused:UNUSED_PAD src0_sel:DWORD src1_sel:BYTE_0
	v_bfe_u32 v41, v31, 8, 8
	v_lshlrev_b32_sdwa v57, v21, v1 dst_sel:DWORD dst_unused:UNUSED_PAD src0_sel:DWORD src1_sel:BYTE_0
	v_bfe_u32 v1, v1, 8, 8
	global_load_dwordx4 v[30:33], v30, s[18:19] offset:976
	v_mul_lo_u32 v39, v38, v39
	v_mul_lo_u32 v90, v38, v40
	v_lshl_or_b32 v1, v1, 4, v20
	v_lshl_or_b32 v58, v41, 4, v20
	global_load_dwordx4 v[40:43], v56, s[8:9]
	global_load_dwordx4 v[44:47], v58, s[8:9]
	;; [unrolled: 1-line block ×4, first 2 shown]
	v_lshlrev_b32_sdwa v1, v21, v39 dst_sel:DWORD dst_unused:UNUSED_PAD src0_sel:DWORD src1_sel:BYTE_0
	v_bfe_u32 v39, v39, 8, 8
	v_lshlrev_b32_sdwa v91, v21, v90 dst_sel:DWORD dst_unused:UNUSED_PAD src0_sel:DWORD src1_sel:BYTE_0
	v_lshl_or_b32 v39, v39, 4, v20
	global_load_dwordx4 v[56:59], v91, s[8:9]
	global_load_dwordx4 v[60:63], v39, s[8:9]
	global_load_dwordx2 v[80:81], v1, s[8:9]
	ds_read_b128 v[64:67], v19 offset:4096
	ds_read_b128 v[68:71], v19 offset:20480
	;; [unrolled: 1-line block ×3, first 2 shown]
	ds_read_b128 v[76:79], v19
	v_bfe_u32 v1, v90, 8, 8
	v_lshl_or_b32 v1, v1, 4, v20
	v_lshlrev_b32_e32 v0, 1, v0
	s_waitcnt vmcnt(13) lgkmcnt(3)
	v_mul_f64 v[82:83], v[66:67], v[4:5]
	v_mul_f64 v[84:85], v[64:65], v[4:5]
	v_fma_f64 v[82:83], v[64:65], v[2:3], -v[82:83]
	v_fmac_f64_e32 v[84:85], v[66:67], v[2:3]
	ds_read_b128 v[2:5], v19 offset:12288
	ds_read_b128 v[64:67], v19 offset:8192
	s_waitcnt vmcnt(12) lgkmcnt(4)
	v_mul_f64 v[88:89], v[68:69], v[12:13]
	v_mul_f64 v[86:87], v[70:71], v[12:13]
	v_fmac_f64_e32 v[88:89], v[70:71], v[10:11]
	s_waitcnt vmcnt(11) lgkmcnt(1)
	v_mul_f64 v[70:71], v[2:3], v[8:9]
	v_mul_f64 v[8:9], v[4:5], v[8:9]
	v_fma_f64 v[68:69], v[68:69], v[10:11], -v[86:87]
	v_fmac_f64_e32 v[70:71], v[4:5], v[6:7]
	v_fma_f64 v[86:87], v[2:3], v[6:7], -v[8:9]
	ds_read_b128 v[2:5], v19 offset:28672
	ds_read_b128 v[6:9], v19 offset:24576
	s_waitcnt vmcnt(9)
	v_mul_f64 v[96:97], v[72:73], v[24:25]
	s_waitcnt vmcnt(8) lgkmcnt(2)
	v_mul_f64 v[98:99], v[64:65], v[28:29]
	v_fmac_f64_e32 v[98:99], v[66:67], v[26:27]
	s_waitcnt lgkmcnt(1)
	v_mul_f64 v[10:11], v[4:5], v[16:17]
	v_mul_f64 v[92:93], v[2:3], v[16:17]
	v_fma_f64 v[94:95], v[2:3], v[14:15], -v[10:11]
	v_mul_f64 v[2:3], v[74:75], v[24:25]
	v_fma_f64 v[72:73], v[72:73], v[22:23], -v[2:3]
	s_waitcnt vmcnt(7) lgkmcnt(0)
	v_mul_f64 v[2:3], v[8:9], v[32:33]
	v_fmac_f64_e32 v[92:93], v[4:5], v[14:15]
	v_mul_f64 v[4:5], v[66:67], v[28:29]
	v_mul_f64 v[32:33], v[6:7], v[32:33]
	v_fma_f64 v[66:67], v[6:7], v[30:31], -v[2:3]
	s_waitcnt vmcnt(5)
	v_mul_f64 v[2:3], v[42:43], v[46:47]
	v_fma_f64 v[64:65], v[64:65], v[26:27], -v[4:5]
	v_fmac_f64_e32 v[32:33], v[8:9], v[30:31]
	v_mul_f64 v[30:31], v[40:41], v[46:47]
	s_waitcnt vmcnt(3)
	v_mul_f64 v[4:5], v[50:51], v[54:55]
	v_fma_f64 v[40:41], v[40:41], v[44:45], -v[2:3]
	s_waitcnt vmcnt(1)
	v_mul_f64 v[2:3], v[58:59], v[62:63]
	v_mul_f64 v[46:47], v[48:49], v[54:55]
	v_fmac_f64_e32 v[30:31], v[42:43], v[44:45]
	v_fma_f64 v[42:43], v[48:49], v[52:53], -v[4:5]
	s_waitcnt vmcnt(0)
	v_fma_f64 v[48:49], v[80:81], v[60:61], -v[2:3]
	v_or_b32_e32 v2, 64, v18
	v_mul_lo_u32 v6, v38, v2
	v_or_b32_e32 v2, 0x140, v18
	v_mul_lo_u32 v2, v38, v2
	v_lshlrev_b32_sdwa v7, v21, v2 dst_sel:DWORD dst_unused:UNUSED_PAD src0_sel:DWORD src1_sel:BYTE_0
	v_bfe_u32 v2, v2, 8, 8
	v_lshl_or_b32 v8, v2, 4, v20
	global_load_dwordx2 v[90:91], v91, s[8:9] offset:8
	v_fmac_f64_e32 v[46:47], v[50:51], v[52:53]
	v_lshlrev_b32_sdwa v19, v21, v6 dst_sel:DWORD dst_unused:UNUSED_PAD src0_sel:DWORD src1_sel:BYTE_0
	global_load_dwordx4 v[2:5], v8, s[8:9]
	global_load_dwordx2 v[50:51], v7, s[8:9]
	v_bfe_u32 v10, v6, 8, 8
	global_load_dwordx4 v[6:9], v1, s[8:9]
	v_lshl_or_b32 v1, v10, 4, v20
	global_load_dwordx4 v[10:13], v1, s[8:9]
	global_load_dwordx4 v[14:17], v19, s[8:9]
	global_load_dwordx2 v[52:53], v19, s[8:9] offset:8
	v_or_b32_e32 v1, 0x100, v18
	v_mul_lo_u32 v1, v38, v1
	v_lshlrev_b32_sdwa v54, v21, v1 dst_sel:DWORD dst_unused:UNUSED_PAD src0_sel:DWORD src1_sel:BYTE_0
	v_bfe_u32 v1, v1, 8, 8
	v_mul_lo_u32 v19, v38, v18
	v_lshl_or_b32 v1, v1, 4, v20
	v_fmac_f64_e32 v[96:97], v[74:75], v[22:23]
	v_lshlrev_b32_sdwa v21, v21, v19 dst_sel:DWORD dst_unused:UNUSED_PAD src0_sel:DWORD src1_sel:BYTE_0
	global_load_dwordx4 v[22:25], v1, s[8:9]
	global_load_dwordx4 v[26:29], v21, s[8:9]
	global_load_dwordx2 v[38:39], v54, s[8:9]
	v_mul_f64 v[44:45], v[80:81], v[62:63]
	v_fmac_f64_e32 v[44:45], v[58:59], v[60:61]
	v_bfe_u32 v1, v19, 8, 8
	v_lshl_or_b32 v1, v1, 4, v20
	v_add_f64 v[72:73], v[76:77], -v[72:73]
	s_waitcnt vmcnt(6)
	v_mul_f64 v[54:55], v[90:91], v[8:9]
	v_fma_f64 v[54:55], v[56:57], v[6:7], -v[54:55]
	v_mul_f64 v[56:57], v[56:57], v[8:9]
	v_fmac_f64_e32 v[56:57], v[90:91], v[6:7]
	s_waitcnt vmcnt(4)
	v_mul_f64 v[6:7], v[16:17], v[4:5]
	v_fma_f64 v[58:59], v[50:51], v[2:3], -v[6:7]
	v_mul_f64 v[50:51], v[50:51], v[4:5]
	v_fmac_f64_e32 v[50:51], v[16:17], v[2:3]
	s_waitcnt vmcnt(3)
	v_mul_f64 v[2:3], v[52:53], v[12:13]
	v_fma_f64 v[60:61], v[14:15], v[10:11], -v[2:3]
	v_mul_f64 v[62:63], v[14:15], v[12:13]
	s_waitcnt vmcnt(1)
	v_mul_f64 v[2:3], v[28:29], v[24:25]
	v_fmac_f64_e32 v[62:63], v[52:53], v[10:11]
	global_load_dwordx2 v[52:53], v21, s[8:9] offset:8
	s_waitcnt vmcnt(1)
	v_fma_f64 v[74:75], v[38:39], v[22:23], -v[2:3]
	global_load_dwordx4 v[2:5], v1, s[8:9]
	v_mul_f64 v[24:25], v[38:39], v[24:25]
	v_fmac_f64_e32 v[24:25], v[28:29], v[22:23]
	v_add_f64 v[28:29], v[82:83], -v[68:69]
	v_add_f64 v[14:15], v[70:71], -v[92:93]
	;; [unrolled: 1-line block ×9, first 2 shown]
	v_add_f64 v[80:81], v[38:39], v[16:17]
	v_add_f64 v[88:89], v[66:67], v[20:21]
	v_fma_f64 v[12:13], s[2:3], v[68:69], v[32:33]
	v_fma_f64 v[10:11], s[2:3], v[88:89], v[80:81]
	v_fmac_f64_e32 v[12:13], s[0:1], v[88:89]
	v_fmac_f64_e32 v[10:11], s[2:3], v[68:69]
	v_mul_f64 v[8:9], v[12:13], v[30:31]
	v_mul_f64 v[6:7], v[10:11], v[30:31]
	v_fmac_f64_e32 v[8:9], v[10:11], v[40:41]
	v_fma_f64 v[30:31], v[80:81], 2.0, -v[10:11]
	v_fma_f64 v[10:11], v[32:33], 2.0, -v[12:13]
	v_fma_f64 v[6:7], v[12:13], v[40:41], -v[6:7]
	v_mul_f64 v[40:41], v[30:31], v[46:47]
	v_mul_f64 v[12:13], v[10:11], v[46:47]
	v_fma_f64 v[10:11], v[10:11], v[42:43], -v[40:41]
	v_fmac_f64_e32 v[12:13], v[30:31], v[42:43]
	v_fma_f64 v[40:41], v[78:79], 2.0, -v[38:39]
	v_fma_f64 v[42:43], v[76:77], 2.0, -v[72:73]
	;; [unrolled: 1-line block ×8, first 2 shown]
	v_add_f64 v[76:77], v[42:43], -v[16:17]
	v_add_f64 v[82:83], v[78:79], -v[14:15]
	;; [unrolled: 1-line block ×5, first 2 shown]
	v_add_f64 v[20:21], v[46:47], v[70:71]
	v_mul_f64 v[16:17], v[22:23], v[44:45]
	v_mul_f64 v[14:15], v[20:21], v[44:45]
	v_fmac_f64_e32 v[16:17], v[20:21], v[48:49]
	v_fma_f64 v[30:31], v[46:47], 2.0, -v[20:21]
	v_fma_f64 v[20:21], v[76:77], 2.0, -v[22:23]
	v_fma_f64 v[14:15], v[22:23], v[48:49], -v[14:15]
	v_mul_f64 v[44:45], v[30:31], v[56:57]
	v_mul_f64 v[22:23], v[20:21], v[56:57]
	v_fma_f64 v[20:21], v[20:21], v[54:55], -v[44:45]
	v_fmac_f64_e32 v[22:23], v[30:31], v[54:55]
	v_fma_f64 v[28:29], v[28:29], 2.0, -v[68:69]
	v_fma_f64 v[44:45], v[38:39], 2.0, -v[80:81]
	;; [unrolled: 1-line block ×4, first 2 shown]
	v_fma_f64 v[48:49], s[0:1], v[30:31], v[44:45]
	v_fma_f64 v[54:55], s[0:1], v[28:29], v[32:33]
	v_fmac_f64_e32 v[48:49], s[2:3], v[28:29]
	v_fmac_f64_e32 v[54:55], s[0:1], v[30:31]
	v_fma_f64 v[46:47], v[40:41], 2.0, -v[46:47]
	v_fma_f64 v[38:39], v[78:79], 2.0, -v[82:83]
	v_mul_f64 v[28:29], v[48:49], v[50:51]
	v_mul_f64 v[30:31], v[54:55], v[50:51]
	v_fma_f64 v[50:51], v[42:43], 2.0, -v[76:77]
	v_add_f64 v[56:57], v[46:47], -v[38:39]
	v_fma_f64 v[38:39], v[64:65], 2.0, -v[70:71]
	v_fma_f64 v[28:29], v[54:55], v[58:59], -v[28:29]
	v_fmac_f64_e32 v[30:31], v[48:49], v[58:59]
	v_add_f64 v[58:59], v[50:51], -v[38:39]
	v_fma_f64 v[32:33], v[32:33], 2.0, -v[54:55]
	v_mul_f64 v[38:39], v[56:57], v[24:25]
	v_mul_f64 v[40:41], v[58:59], v[24:25]
	v_fma_f64 v[24:25], v[44:45], 2.0, -v[48:49]
	v_mul_f64 v[44:45], v[32:33], v[62:63]
	v_fmac_f64_e32 v[44:45], v[24:25], v[60:61]
	v_mul_f64 v[24:25], v[24:25], v[62:63]
	v_fma_f64 v[42:43], v[32:33], v[60:61], -v[24:25]
	v_fma_f64 v[32:33], v[46:47], 2.0, -v[56:57]
	s_movk_i32 s0, 0x600
	s_waitcnt vmcnt(0)
	v_mul_f64 v[24:25], v[52:53], v[4:5]
	v_fma_f64 v[24:25], v[26:27], v[2:3], -v[24:25]
	v_mul_f64 v[26:27], v[26:27], v[4:5]
	v_fmac_f64_e32 v[26:27], v[52:53], v[2:3]
	v_fma_f64 v[2:3], v[50:51], 2.0, -v[58:59]
	v_mul_f64 v[4:5], v[26:27], v[2:3]
	v_mul_f64 v[26:27], v[26:27], v[32:33]
	v_fmac_f64_e32 v[4:5], v[24:25], v[32:33]
	v_fma_f64 v[2:3], v[24:25], v[2:3], -v[26:27]
	v_and_or_b32 v24, v0, s0, v18
	v_mad_u64_u32 v[0:1], s[0:1], s4, v24, 0
	v_mov_b32_e32 v18, v1
	v_mad_u64_u32 v[18:19], s[0:1], s5, v24, v[18:19]
	v_mov_b32_e32 v1, v18
	v_lshlrev_b64 v[18:19], 4, v[34:35]
	v_lshl_add_u64 v[18:19], s[16:17], 0, v[18:19]
	v_lshl_add_u64 v[18:19], v[36:37], 4, v[18:19]
	;; [unrolled: 1-line block ×3, first 2 shown]
	global_store_dwordx4 v[0:1], v[2:5], off
	v_fma_f64 v[38:39], v[58:59], v[74:75], -v[38:39]
	v_fmac_f64_e32 v[40:41], v[56:57], v[74:75]
	v_or_b32_e32 v3, 64, v24
	v_mad_u64_u32 v[0:1], s[0:1], s4, v3, 0
	v_mov_b32_e32 v2, v1
	v_mad_u64_u32 v[2:3], s[0:1], s5, v3, v[2:3]
	v_mov_b32_e32 v1, v2
	v_lshl_add_u64 v[0:1], v[0:1], 4, v[18:19]
	v_or_b32_e32 v3, 0x80, v24
	global_store_dwordx4 v[0:1], v[42:45], off
	v_mad_u64_u32 v[0:1], s[0:1], s4, v3, 0
	v_mov_b32_e32 v2, v1
	v_mad_u64_u32 v[2:3], s[0:1], s5, v3, v[2:3]
	v_mov_b32_e32 v1, v2
	v_lshl_add_u64 v[0:1], v[0:1], 4, v[18:19]
	v_or_b32_e32 v3, 0xc0, v24
	global_store_dwordx4 v[0:1], v[20:23], off
	;; [unrolled: 7-line block ×6, first 2 shown]
	v_mad_u64_u32 v[0:1], s[0:1], s4, v3, 0
	v_mov_b32_e32 v2, v1
	v_mad_u64_u32 v[2:3], s[0:1], s5, v3, v[2:3]
	v_mov_b32_e32 v1, v2
	v_lshl_add_u64 v[0:1], v[0:1], 4, v[18:19]
	global_store_dwordx4 v[0:1], v[6:9], off
.LBB0_29:
	s_endpgm
	.section	.rodata,"a",@progbits
	.p2align	6, 0x0
	.amdhsa_kernel fft_rtc_fwd_len512_factors_8_8_8_wgs_256_tpt_64_dp_ip_CI_sbcc_twdbase8_2step_dirReg_intrinsicRead
		.amdhsa_group_segment_fixed_size 0
		.amdhsa_private_segment_fixed_size 0
		.amdhsa_kernarg_size 96
		.amdhsa_user_sgpr_count 2
		.amdhsa_user_sgpr_dispatch_ptr 0
		.amdhsa_user_sgpr_queue_ptr 0
		.amdhsa_user_sgpr_kernarg_segment_ptr 1
		.amdhsa_user_sgpr_dispatch_id 0
		.amdhsa_user_sgpr_kernarg_preload_length 0
		.amdhsa_user_sgpr_kernarg_preload_offset 0
		.amdhsa_user_sgpr_private_segment_size 0
		.amdhsa_uses_dynamic_stack 0
		.amdhsa_enable_private_segment 0
		.amdhsa_system_sgpr_workgroup_id_x 1
		.amdhsa_system_sgpr_workgroup_id_y 0
		.amdhsa_system_sgpr_workgroup_id_z 0
		.amdhsa_system_sgpr_workgroup_info 0
		.amdhsa_system_vgpr_workitem_id 0
		.amdhsa_next_free_vgpr 100
		.amdhsa_next_free_sgpr 43
		.amdhsa_accum_offset 100
		.amdhsa_reserve_vcc 1
		.amdhsa_float_round_mode_32 0
		.amdhsa_float_round_mode_16_64 0
		.amdhsa_float_denorm_mode_32 3
		.amdhsa_float_denorm_mode_16_64 3
		.amdhsa_dx10_clamp 1
		.amdhsa_ieee_mode 1
		.amdhsa_fp16_overflow 0
		.amdhsa_tg_split 0
		.amdhsa_exception_fp_ieee_invalid_op 0
		.amdhsa_exception_fp_denorm_src 0
		.amdhsa_exception_fp_ieee_div_zero 0
		.amdhsa_exception_fp_ieee_overflow 0
		.amdhsa_exception_fp_ieee_underflow 0
		.amdhsa_exception_fp_ieee_inexact 0
		.amdhsa_exception_int_div_zero 0
	.end_amdhsa_kernel
	.text
.Lfunc_end0:
	.size	fft_rtc_fwd_len512_factors_8_8_8_wgs_256_tpt_64_dp_ip_CI_sbcc_twdbase8_2step_dirReg_intrinsicRead, .Lfunc_end0-fft_rtc_fwd_len512_factors_8_8_8_wgs_256_tpt_64_dp_ip_CI_sbcc_twdbase8_2step_dirReg_intrinsicRead
                                        ; -- End function
	.section	.AMDGPU.csdata,"",@progbits
; Kernel info:
; codeLenInByte = 5336
; NumSgprs: 49
; NumVgprs: 100
; NumAgprs: 0
; TotalNumVgprs: 100
; ScratchSize: 0
; MemoryBound: 0
; FloatMode: 240
; IeeeMode: 1
; LDSByteSize: 0 bytes/workgroup (compile time only)
; SGPRBlocks: 6
; VGPRBlocks: 12
; NumSGPRsForWavesPerEU: 49
; NumVGPRsForWavesPerEU: 100
; AccumOffset: 100
; Occupancy: 4
; WaveLimiterHint : 1
; COMPUTE_PGM_RSRC2:SCRATCH_EN: 0
; COMPUTE_PGM_RSRC2:USER_SGPR: 2
; COMPUTE_PGM_RSRC2:TRAP_HANDLER: 0
; COMPUTE_PGM_RSRC2:TGID_X_EN: 1
; COMPUTE_PGM_RSRC2:TGID_Y_EN: 0
; COMPUTE_PGM_RSRC2:TGID_Z_EN: 0
; COMPUTE_PGM_RSRC2:TIDIG_COMP_CNT: 0
; COMPUTE_PGM_RSRC3_GFX90A:ACCUM_OFFSET: 24
; COMPUTE_PGM_RSRC3_GFX90A:TG_SPLIT: 0
	.text
	.p2alignl 6, 3212836864
	.fill 256, 4, 3212836864
	.type	__hip_cuid_a078b2f924147b74,@object ; @__hip_cuid_a078b2f924147b74
	.section	.bss,"aw",@nobits
	.globl	__hip_cuid_a078b2f924147b74
__hip_cuid_a078b2f924147b74:
	.byte	0                               ; 0x0
	.size	__hip_cuid_a078b2f924147b74, 1

	.ident	"AMD clang version 19.0.0git (https://github.com/RadeonOpenCompute/llvm-project roc-6.4.0 25133 c7fe45cf4b819c5991fe208aaa96edf142730f1d)"
	.section	".note.GNU-stack","",@progbits
	.addrsig
	.addrsig_sym __hip_cuid_a078b2f924147b74
	.amdgpu_metadata
---
amdhsa.kernels:
  - .agpr_count:     0
    .args:
      - .actual_access:  read_only
        .address_space:  global
        .offset:         0
        .size:           8
        .value_kind:     global_buffer
      - .address_space:  global
        .offset:         8
        .size:           8
        .value_kind:     global_buffer
      - .offset:         16
        .size:           8
        .value_kind:     by_value
      - .actual_access:  read_only
        .address_space:  global
        .offset:         24
        .size:           8
        .value_kind:     global_buffer
      - .actual_access:  read_only
        .address_space:  global
        .offset:         32
        .size:           8
        .value_kind:     global_buffer
      - .offset:         40
        .size:           8
        .value_kind:     by_value
      - .actual_access:  read_only
        .address_space:  global
        .offset:         48
        .size:           8
        .value_kind:     global_buffer
      - .actual_access:  read_only
        .address_space:  global
        .offset:         56
        .size:           8
        .value_kind:     global_buffer
      - .offset:         64
        .size:           4
        .value_kind:     by_value
      - .actual_access:  read_only
        .address_space:  global
        .offset:         72
        .size:           8
        .value_kind:     global_buffer
      - .actual_access:  read_only
        .address_space:  global
        .offset:         80
        .size:           8
        .value_kind:     global_buffer
      - .address_space:  global
        .offset:         88
        .size:           8
        .value_kind:     global_buffer
    .group_segment_fixed_size: 0
    .kernarg_segment_align: 8
    .kernarg_segment_size: 96
    .language:       OpenCL C
    .language_version:
      - 2
      - 0
    .max_flat_workgroup_size: 256
    .name:           fft_rtc_fwd_len512_factors_8_8_8_wgs_256_tpt_64_dp_ip_CI_sbcc_twdbase8_2step_dirReg_intrinsicRead
    .private_segment_fixed_size: 0
    .sgpr_count:     49
    .sgpr_spill_count: 0
    .symbol:         fft_rtc_fwd_len512_factors_8_8_8_wgs_256_tpt_64_dp_ip_CI_sbcc_twdbase8_2step_dirReg_intrinsicRead.kd
    .uniform_work_group_size: 1
    .uses_dynamic_stack: false
    .vgpr_count:     100
    .vgpr_spill_count: 0
    .wavefront_size: 64
amdhsa.target:   amdgcn-amd-amdhsa--gfx950
amdhsa.version:
  - 1
  - 2
...

	.end_amdgpu_metadata
